;; amdgpu-corpus repo=ROCm/rocFFT kind=compiled arch=gfx1100 opt=O3
	.text
	.amdgcn_target "amdgcn-amd-amdhsa--gfx1100"
	.amdhsa_code_object_version 6
	.protected	fft_rtc_fwd_len17_factors_17_wgs_120_tpt_1_dp_op_CI_CI_sbrc_xy_z_aligned_dirReg ; -- Begin function fft_rtc_fwd_len17_factors_17_wgs_120_tpt_1_dp_op_CI_CI_sbrc_xy_z_aligned_dirReg
	.globl	fft_rtc_fwd_len17_factors_17_wgs_120_tpt_1_dp_op_CI_CI_sbrc_xy_z_aligned_dirReg
	.p2align	8
	.type	fft_rtc_fwd_len17_factors_17_wgs_120_tpt_1_dp_op_CI_CI_sbrc_xy_z_aligned_dirReg,@function
fft_rtc_fwd_len17_factors_17_wgs_120_tpt_1_dp_op_CI_CI_sbrc_xy_z_aligned_dirReg: ; @fft_rtc_fwd_len17_factors_17_wgs_120_tpt_1_dp_op_CI_CI_sbrc_xy_z_aligned_dirReg
; %bb.0:
	s_clause 0x1
	s_load_b128 s[16:19], s[0:1], 0x10
	s_load_b64 s[24:25], s[0:1], 0x20
	s_mov_b32 s2, s15
	s_load_b128 s[8:11], s[0:1], 0x58
	s_waitcnt lgkmcnt(0)
	s_load_b128 s[20:23], s[16:17], 0x8
	s_waitcnt lgkmcnt(0)
	s_add_i32 s3, s22, -1
	s_load_b64 s[22:23], s[18:19], 0x10
	s_mul_hi_u32 s3, s3, 0x88888889
	s_delay_alu instid0(SALU_CYCLE_1) | instskip(NEXT) | instid1(SALU_CYCLE_1)
	s_lshr_b32 s3, s3, 6
	s_add_i32 s3, s3, 1
	s_delay_alu instid0(SALU_CYCLE_1) | instskip(NEXT) | instid1(SALU_CYCLE_1)
	s_mul_i32 s26, s3, s20
	v_cvt_f32_u32_e32 v1, s26
	s_sub_i32 s4, 0, s26
	s_delay_alu instid0(VALU_DEP_1) | instskip(SKIP_2) | instid1(VALU_DEP_1)
	v_rcp_iflag_f32_e32 v1, v1
	s_waitcnt_depctr 0xfff
	v_mul_f32_e32 v1, 0x4f7ffffe, v1
	v_cvt_u32_f32_e32 v1, v1
	s_delay_alu instid0(VALU_DEP_1) | instskip(SKIP_1) | instid1(VALU_DEP_2)
	v_readfirstlane_b32 s3, v1
	v_cvt_f32_u32_e32 v1, s20
	s_mul_i32 s4, s4, s3
	s_delay_alu instid0(SALU_CYCLE_1) | instskip(NEXT) | instid1(SALU_CYCLE_1)
	s_mul_hi_u32 s4, s3, s4
	s_add_i32 s3, s3, s4
	s_delay_alu instid0(SALU_CYCLE_1)
	s_mul_hi_u32 s3, s15, s3
	s_load_b128 s[12:15], s[18:19], 0x0
	s_mul_i32 s4, s3, s26
	s_waitcnt lgkmcnt(0)
	s_add_i32 s23, s3, 1
	s_sub_i32 s15, s2, s4
	s_clause 0x1
	s_load_b128 s[4:7], s[24:25], 0x0
	s_load_b64 s[16:17], s[24:25], 0x10
	s_sub_i32 s27, s15, s26
	s_cmp_ge_u32 s15, s26
	s_cselect_b32 s3, s23, s3
	s_waitcnt lgkmcnt(0)
	s_cselect_b32 s7, s27, s15
	s_add_i32 s15, s3, 1
	s_cmp_ge_u32 s7, s26
	s_cselect_b32 s7, s15, s3
	s_mov_b32 s3, 0
	s_mul_i32 s15, s7, s26
	s_mov_b32 s29, s3
	s_sub_i32 s28, s2, s15
	s_mov_b64 s[26:27], 0
	v_cmp_lt_u64_e64 s15, s[28:29], s[20:21]
	s_delay_alu instid0(VALU_DEP_1)
	s_and_b32 vcc_lo, exec_lo, s15
	s_cbranch_vccnz .LBB0_2
; %bb.1:
	v_rcp_iflag_f32_e32 v2, v1
	s_sub_i32 s17, 0, s20
	s_waitcnt_depctr 0xfff
	v_mul_f32_e32 v2, 0x4f7ffffe, v2
	s_delay_alu instid0(VALU_DEP_1) | instskip(NEXT) | instid1(VALU_DEP_1)
	v_cvt_u32_f32_e32 v2, v2
	v_readfirstlane_b32 s15, v2
	s_delay_alu instid0(VALU_DEP_1) | instskip(NEXT) | instid1(SALU_CYCLE_1)
	s_mul_i32 s17, s17, s15
	s_mul_hi_u32 s17, s15, s17
	s_delay_alu instid0(SALU_CYCLE_1) | instskip(NEXT) | instid1(SALU_CYCLE_1)
	s_add_i32 s15, s15, s17
	s_mul_hi_u32 s15, s28, s15
	s_delay_alu instid0(SALU_CYCLE_1) | instskip(SKIP_2) | instid1(SALU_CYCLE_1)
	s_mul_i32 s17, s15, s20
	s_add_i32 s23, s15, 1
	s_sub_i32 s17, s28, s17
	s_sub_i32 s26, s17, s20
	s_cmp_ge_u32 s17, s20
	s_cselect_b32 s15, s23, s15
	s_cselect_b32 s17, s26, s17
	s_add_i32 s23, s15, 1
	s_cmp_ge_u32 s17, s20
	s_cselect_b32 s26, s23, s15
.LBB0_2:
	v_cmp_lt_u64_e64 s3, s[2:3], s[20:21]
	s_delay_alu instid0(VALU_DEP_1)
	s_and_b32 vcc_lo, exec_lo, s3
	s_cbranch_vccnz .LBB0_4
; %bb.3:
	v_rcp_iflag_f32_e32 v1, v1
	s_sub_i32 s15, 0, s20
	s_waitcnt_depctr 0xfff
	v_mul_f32_e32 v1, 0x4f7ffffe, v1
	s_delay_alu instid0(VALU_DEP_1) | instskip(NEXT) | instid1(VALU_DEP_1)
	v_cvt_u32_f32_e32 v1, v1
	v_readfirstlane_b32 s3, v1
	s_delay_alu instid0(VALU_DEP_1) | instskip(NEXT) | instid1(SALU_CYCLE_1)
	s_mul_i32 s15, s15, s3
	s_mul_hi_u32 s15, s3, s15
	s_delay_alu instid0(SALU_CYCLE_1) | instskip(NEXT) | instid1(SALU_CYCLE_1)
	s_add_i32 s3, s3, s15
	s_mul_hi_u32 s3, s2, s3
	s_delay_alu instid0(SALU_CYCLE_1) | instskip(NEXT) | instid1(SALU_CYCLE_1)
	s_mul_i32 s3, s3, s20
	s_sub_i32 s2, s2, s3
	s_delay_alu instid0(SALU_CYCLE_1) | instskip(SKIP_2) | instid1(SALU_CYCLE_1)
	s_sub_i32 s3, s2, s20
	s_cmp_ge_u32 s2, s20
	s_cselect_b32 s2, s3, s2
	s_sub_i32 s3, s2, s20
	s_cmp_ge_u32 s2, s20
	s_cselect_b32 s2, s3, s2
.LBB0_4:
	s_load_b64 s[20:21], s[0:1], 0x8
	v_add_nc_u16 v28, v0, 0x708
	v_add_nc_u16 v4, v0, 0x78
	s_mul_i32 s17, s26, 0x78
	s_mul_i32 s0, s2, s14
	;; [unrolled: 1-line block ×3, first 2 shown]
	v_and_b32_e32 v41, 0xffff, v28
	v_and_b32_e32 v2, 0xffff, v4
	s_add_i32 s0, s0, s1
	v_mul_u32_u24_e32 v1, 0xf10, v0
	v_add_nc_u16 v6, v0, 0x168
	v_mul_u32_u24_e32 v41, 0xf10, v41
	v_mul_u32_u24_e32 v2, 0xf10, v2
	v_add_nc_u16 v18, v0, 0x258
	v_lshrrev_b32_e32 v1, 16, v1
	s_mov_b32 s1, 0
	v_lshrrev_b32_e32 v90, 16, v41
	v_lshrrev_b32_e32 v2, 16, v2
	v_add_nc_u16 v23, v0, 0x4b0
	v_mul_lo_u16 v3, v1, 17
	s_waitcnt lgkmcnt(0)
	s_lshl_b64 s[14:15], s[20:21], 3
	v_mul_lo_u16 v41, v90, 17
	s_add_u32 s18, s18, s14
	s_addc_u32 s19, s19, s15
	v_mul_lo_u16 v7, v2, 17
	s_load_b64 s[18:19], s[18:19], 0x0
	v_sub_nc_u16 v105, v28, v41
	v_sub_nc_u16 v3, v0, v3
	v_mov_b32_e32 v44, 0
	v_sub_nc_u16 v4, v4, v7
	v_mul_lo_u32 v43, s22, v1
	v_and_b32_e32 v60, 0xffff, v105
	v_and_b32_e32 v13, 0xffff, v3
	;; [unrolled: 1-line block ×3, first 2 shown]
	v_add_nc_u16 v17, v0, 0x1e0
	v_add_nc_u16 v5, v0, 0xf0
	v_mad_u64_u32 v[63:64], null, s12, v60, 0
	v_and_b32_e32 v16, 0xffff, v4
	v_mad_u64_u32 v[7:8], null, s12, v13, 0
	v_mul_u32_u24_e32 v36, 0xf10, v36
	v_and_b32_e32 v30, 0xffff, v17
	s_delay_alu instid0(VALU_DEP_4)
	v_mad_u64_u32 v[9:10], null, s12, v16, 0
	s_waitcnt lgkmcnt(0)
	s_mul_i32 s3, s19, s7
	s_mul_hi_u32 s19, s18, s7
	s_mul_i32 s18, s18, s7
	s_add_i32 s19, s19, s3
	s_add_u32 s14, s24, s14
	s_addc_u32 s15, s25, s15
	v_mad_u64_u32 v[11:12], null, s13, v13, v[8:9]
	s_load_b64 s[14:15], s[14:15], 0x0
	s_lshl_b64 s[18:19], s[18:19], 4
	v_lshlrev_b64 v[12:13], 4, v[43:44]
	v_and_b32_e32 v29, 0xffff, v6
	v_mul_lo_u32 v43, s22, v2
	v_lshrrev_b32_e32 v85, 16, v36
	v_mad_u64_u32 v[14:15], null, s13, v16, v[10:11]
	v_mov_b32_e32 v8, v11
	v_mul_u32_u24_e32 v29, 0xf10, v29
	v_mul_u32_u24_e32 v30, 0xf10, v30
	v_and_b32_e32 v31, 0xffff, v18
	v_lshlrev_b64 v[15:16], 4, v[43:44]
	v_lshlrev_b64 v[7:8], 4, v[7:8]
	v_mov_b32_e32 v10, v14
	v_mul_lo_u16 v36, v85, 17
	v_lshrrev_b32_e32 v78, 16, v29
	v_lshrrev_b32_e32 v79, 16, v30
	v_add_nc_u16 v22, v0, 0x438
	v_lshlrev_b64 v[9:10], 4, v[9:10]
	s_waitcnt lgkmcnt(0)
	s_mul_i32 s3, s15, s7
	s_mul_hi_u32 s15, s14, s7
	v_sub_nc_u16 v100, v23, v36
	s_add_i32 s3, s15, s3
	s_add_u32 s15, s8, s18
	s_addc_u32 s18, s9, s19
	s_lshl_b64 s[8:9], s[0:1], 4
	v_mul_lo_u16 v29, v78, 17
	s_add_u32 s0, s15, s8
	s_addc_u32 s8, s18, s9
	v_add_co_u32 v7, vcc_lo, s0, v7
	v_add_co_ci_u32_e32 v8, vcc_lo, s8, v8, vcc_lo
	v_add_co_u32 v9, vcc_lo, s0, v9
	v_add_co_ci_u32_e32 v10, vcc_lo, s8, v10, vcc_lo
	s_delay_alu instid0(VALU_DEP_4) | instskip(NEXT) | instid1(VALU_DEP_4)
	v_add_co_u32 v7, vcc_lo, v7, v12
	v_add_co_ci_u32_e32 v8, vcc_lo, v8, v13, vcc_lo
	s_delay_alu instid0(VALU_DEP_4) | instskip(NEXT) | instid1(VALU_DEP_4)
	v_add_co_u32 v11, vcc_lo, v9, v15
	v_add_co_ci_u32_e32 v12, vcc_lo, v10, v16, vcc_lo
	s_clause 0x1
	global_load_b128 v[7:10], v[7:8], off
	global_load_b128 v[11:14], v[11:12], off
	v_mul_lo_u16 v30, v79, 17
	v_and_b32_e32 v50, 0xffff, v100
	v_add_nc_u16 v24, v0, 0x528
	v_and_b32_e32 v16, 0xffff, v5
	v_sub_nc_u16 v93, v6, v29
	v_sub_nc_u16 v94, v17, v30
	v_mad_u64_u32 v[29:30], null, s12, v50, 0
	v_and_b32_e32 v35, 0xffff, v22
	v_add_nc_u16 v27, v0, 0x690
	v_and_b32_e32 v37, 0xffff, v24
	v_mul_u32_u24_e32 v16, 0xf10, v16
	v_add_nc_u16 v25, v0, 0x5a0
	v_mul_u32_u24_e32 v35, 0xf10, v35
	v_and_b32_e32 v40, 0xffff, v27
	v_mul_u32_u24_e32 v37, 0xf10, v37
	v_lshrrev_b32_e32 v77, 16, v16
	v_and_b32_e32 v38, 0xffff, v25
	v_lshrrev_b32_e32 v84, 16, v35
	v_mul_u32_u24_e32 v40, 0xf10, v40
	v_lshrrev_b32_e32 v86, 16, v37
	v_mul_lo_u16 v16, v77, 17
	v_add_nc_u16 v20, v0, 0x348
	v_mul_lo_u16 v35, v84, 17
	v_lshrrev_b32_e32 v89, 16, v40
	v_mul_lo_u16 v37, v86, 17
	v_sub_nc_u16 v92, v5, v16
	v_add_nc_u16 v21, v0, 0x3c0
	v_sub_nc_u16 v99, v22, v35
	v_mul_lo_u16 v40, v89, 17
	v_sub_nc_u16 v101, v24, v37
	v_and_b32_e32 v37, 0xffff, v92
	v_mul_u32_u24_e32 v38, 0xf10, v38
	v_and_b32_e32 v47, 0xffff, v99
	v_sub_nc_u16 v104, v27, v40
	v_and_b32_e32 v34, 0xffff, v21
	v_mad_u64_u32 v[5:6], null, s12, v37, 0
	s_delay_alu instid0(VALU_DEP_4)
	v_mad_u64_u32 v[27:28], null, s12, v47, 0
	v_and_b32_e32 v33, 0xffff, v20
	v_lshrrev_b32_e32 v87, 16, v38
	v_mul_u32_u24_e32 v34, 0xf10, v34
	v_add_nc_u16 v19, v0, 0x2d0
	v_add_nc_u16 v26, v0, 0x618
	v_or_b32_e32 v15, 0x780, v0
	v_mul_lo_u16 v38, v87, 17
	v_lshrrev_b32_e32 v83, 16, v34
	v_and_b32_e32 v32, 0xffff, v19
	v_mul_u32_u24_e32 v31, 0xf10, v31
	v_and_b32_e32 v42, 0xffff, v15
	v_sub_nc_u16 v102, v25, v38
	v_mul_lo_u16 v34, v83, 17
	v_mul_u32_u24_e32 v32, 0xf10, v32
	v_lshrrev_b32_e32 v80, 16, v31
	v_mul_u32_u24_e32 v42, 0xf10, v42
	v_and_b32_e32 v52, 0xffff, v102
	v_sub_nc_u16 v98, v21, v34
	v_lshrrev_b32_e32 v81, 16, v32
	v_mul_lo_u16 v31, v80, 17
	v_lshrrev_b32_e32 v91, 16, v42
	v_and_b32_e32 v38, 0xffff, v93
	v_and_b32_e32 v54, 0xffff, v104
	v_mul_lo_u16 v32, v81, 17
	v_sub_nc_u16 v95, v18, v31
	v_mul_lo_u16 v42, v91, 17
	v_mul_lo_u32 v43, s22, v77
	v_mad_u64_u32 v[61:62], null, s12, v54, 0
	v_sub_nc_u16 v96, v19, v32
	v_and_b32_e32 v40, 0xffff, v95
	v_sub_nc_u16 v106, v15, v42
	v_mad_u64_u32 v[15:16], null, s12, v38, 0
	s_delay_alu instid0(VALU_DEP_4)
	v_and_b32_e32 v41, 0xffff, v96
	v_and_b32_e32 v51, 0xffff, v101
	v_mul_lo_u16 v3, 0x78, v3
	v_mad_u16 v2, 0x78, v4, v2
	v_mad_u16 v4, 0x78, v92, v77
	v_mad_u64_u32 v[21:22], null, s12, v41, 0
	s_delay_alu instid0(VALU_DEP_4)
	v_or_b32_e32 v1, v3, v1
	v_and_b32_e32 v72, 0xffff, v106
	v_and_b32_e32 v2, 0xffff, v2
	s_mov_b32 s28, 0x5d8e7cdc
	s_mov_b32 s29, 0xbfd71e95
	;; [unrolled: 1-line block ×4, first 2 shown]
	v_lshl_add_u32 v2, v2, 4, 0
	s_mov_b32 s48, 0x7c9e640b
	s_mov_b32 s18, 0x75d4884
	;; [unrolled: 1-line block ×34, first 2 shown]
	v_and_b32_e32 v1, 0xffff, v1
	s_delay_alu instid0(VALU_DEP_1)
	v_lshl_add_u32 v1, v1, 4, 0
	s_waitcnt vmcnt(1)
	v_mad_u64_u32 v[35:36], null, s13, v37, v[6:7]
	v_mov_b32_e32 v6, v28
	v_mov_b32_e32 v28, v62
	v_mul_u32_u24_e32 v33, 0xf10, v33
	v_mad_u64_u32 v[31:32], null, s12, v51, 0
	s_delay_alu instid0(VALU_DEP_3) | instskip(NEXT) | instid1(VALU_DEP_3)
	v_mad_u64_u32 v[57:58], null, s13, v54, v[28:29]
	v_lshrrev_b32_e32 v82, 16, v33
	s_delay_alu instid0(VALU_DEP_1) | instskip(NEXT) | instid1(VALU_DEP_1)
	v_mul_lo_u16 v33, v82, 17
	v_sub_nc_u16 v97, v20, v33
	v_mad_u64_u32 v[33:34], null, s12, v52, 0
	v_and_b32_e32 v39, 0xffff, v26
	v_mad_u64_u32 v[19:20], null, s12, v40, 0
	s_delay_alu instid0(VALU_DEP_4) | instskip(NEXT) | instid1(VALU_DEP_3)
	v_and_b32_e32 v42, 0xffff, v97
	v_mul_u32_u24_e32 v39, 0xf10, v39
	s_delay_alu instid0(VALU_DEP_2) | instskip(NEXT) | instid1(VALU_DEP_2)
	v_mad_u64_u32 v[23:24], null, s12, v42, 0
	v_lshrrev_b32_e32 v88, 16, v39
	s_delay_alu instid0(VALU_DEP_1) | instskip(NEXT) | instid1(VALU_DEP_1)
	v_mul_lo_u16 v39, v88, 17
	v_sub_nc_u16 v103, v26, v39
	v_and_b32_e32 v39, 0xffff, v94
	s_delay_alu instid0(VALU_DEP_1) | instskip(NEXT) | instid1(VALU_DEP_1)
	v_mad_u64_u32 v[17:18], null, s12, v39, 0
	v_mad_u64_u32 v[36:37], null, s13, v38, v[16:17]
	s_delay_alu instid0(VALU_DEP_2)
	v_mad_u64_u32 v[37:38], null, s13, v39, v[18:19]
	v_mad_u64_u32 v[38:39], null, s13, v40, v[20:21]
	v_and_b32_e32 v45, 0xffff, v98
	v_mad_u64_u32 v[39:40], null, s13, v41, v[22:23]
	v_mov_b32_e32 v16, v30
	v_mov_b32_e32 v18, v32
	;; [unrolled: 1-line block ×3, first 2 shown]
	v_mad_u64_u32 v[25:26], null, s12, v45, 0
	s_delay_alu instid0(VALU_DEP_4) | instskip(NEXT) | instid1(VALU_DEP_4)
	v_mad_u64_u32 v[48:49], null, s13, v50, v[16:17]
	v_mad_u64_u32 v[49:50], null, s13, v51, v[18:19]
	v_lshlrev_b64 v[50:51], 4, v[43:44]
	v_mul_lo_u32 v43, s22, v78
	v_mad_u64_u32 v[40:41], null, s13, v42, v[24:25]
	v_and_b32_e32 v53, 0xffff, v103
	v_mad_u64_u32 v[41:42], null, s13, v45, v[26:27]
	v_mad_u64_u32 v[45:46], null, s13, v47, v[6:7]
	v_mov_b32_e32 v16, v34
	v_mov_b32_e32 v24, v40
	v_mad_u64_u32 v[46:47], null, s12, v53, 0
	v_mov_b32_e32 v6, v35
	s_delay_alu instid0(VALU_DEP_4)
	v_mad_u64_u32 v[34:35], null, s13, v52, v[16:17]
	v_mov_b32_e32 v16, v36
	v_mov_b32_e32 v18, v37
	v_lshlrev_b64 v[35:36], 4, v[43:44]
	v_mov_b32_e32 v22, v47
	v_mul_lo_u32 v43, s22, v79
	v_lshlrev_b64 v[5:6], 4, v[5:6]
	v_lshlrev_b64 v[15:16], 4, v[15:16]
	;; [unrolled: 1-line block ×3, first 2 shown]
	v_mad_u64_u32 v[37:38], null, s13, v53, v[22:23]
	v_mov_b32_e32 v22, v39
	v_mov_b32_e32 v28, v45
	v_lshlrev_b64 v[38:39], 4, v[43:44]
	v_mul_lo_u32 v43, s22, v80
	v_lshlrev_b64 v[19:20], 4, v[19:20]
	v_mov_b32_e32 v26, v41
	v_mov_b32_e32 v47, v37
	v_add_co_u32 v37, vcc_lo, s0, v5
	v_add_co_ci_u32_e32 v42, vcc_lo, s8, v6, vcc_lo
	s_delay_alu instid0(VALU_DEP_3)
	v_lshlrev_b64 v[45:46], 4, v[46:47]
	v_add_co_u32 v47, vcc_lo, s0, v15
	v_add_co_ci_u32_e32 v54, vcc_lo, s8, v16, vcc_lo
	v_lshlrev_b64 v[40:41], 4, v[43:44]
	v_mul_lo_u32 v43, s22, v81
	v_lshlrev_b64 v[21:22], 4, v[21:22]
	v_add_co_u32 v17, vcc_lo, s0, v17
	v_add_co_ci_u32_e32 v18, vcc_lo, s8, v18, vcc_lo
	v_lshlrev_b64 v[23:24], 4, v[23:24]
	v_add_co_u32 v55, vcc_lo, s0, v19
	v_add_co_ci_u32_e32 v56, vcc_lo, s8, v20, vcc_lo
	v_lshlrev_b64 v[25:26], 4, v[25:26]
	v_add_co_u32 v21, vcc_lo, s0, v21
	v_mov_b32_e32 v30, v48
	v_mov_b32_e32 v32, v49
	v_lshlrev_b64 v[48:49], 4, v[43:44]
	v_mul_lo_u32 v43, s22, v82
	v_add_co_ci_u32_e32 v22, vcc_lo, s8, v22, vcc_lo
	v_lshlrev_b64 v[27:28], 4, v[27:28]
	v_add_co_u32 v58, vcc_lo, s0, v23
	v_add_co_ci_u32_e32 v59, vcc_lo, s8, v24, vcc_lo
	v_lshlrev_b64 v[29:30], 4, v[29:30]
	v_add_co_u32 v62, vcc_lo, s0, v25
	;; [unrolled: 3-line block ×3, first 2 shown]
	v_lshlrev_b64 v[52:53], 4, v[43:44]
	v_mul_lo_u32 v43, s22, v83
	v_add_co_ci_u32_e32 v67, vcc_lo, s8, v28, vcc_lo
	v_lshlrev_b64 v[33:34], 4, v[33:34]
	v_add_co_u32 v68, vcc_lo, s0, v29
	v_add_co_ci_u32_e32 v69, vcc_lo, s8, v30, vcc_lo
	v_add_co_u32 v70, vcc_lo, s0, v31
	v_add_co_ci_u32_e32 v71, vcc_lo, s8, v32, vcc_lo
	v_add_co_u32 v73, vcc_lo, s0, v33
	v_lshlrev_b64 v[5:6], 4, v[43:44]
	v_mul_lo_u32 v43, s22, v84
	v_add_co_ci_u32_e32 v74, vcc_lo, s8, v34, vcc_lo
	v_add_co_u32 v75, vcc_lo, s0, v45
	v_add_co_ci_u32_e32 v76, vcc_lo, s8, v46, vcc_lo
	v_add_co_u32 v15, vcc_lo, v37, v50
	v_add_co_ci_u32_e32 v16, vcc_lo, v42, v51, vcc_lo
	v_lshlrev_b64 v[31:32], 4, v[43:44]
	v_mul_lo_u32 v43, s22, v85
	v_add_co_u32 v19, vcc_lo, v47, v35
	v_add_co_ci_u32_e32 v20, vcc_lo, v54, v36, vcc_lo
	v_add_co_u32 v23, vcc_lo, v17, v38
	v_add_co_ci_u32_e32 v24, vcc_lo, v18, v39, vcc_lo
	v_add_co_u32 v27, vcc_lo, v55, v40
	v_lshlrev_b64 v[39:40], 4, v[43:44]
	v_mul_lo_u32 v43, s22, v86
	v_add_co_ci_u32_e32 v28, vcc_lo, v56, v41, vcc_lo
	v_add_co_u32 v33, vcc_lo, v21, v48
	v_add_co_ci_u32_e32 v34, vcc_lo, v22, v49, vcc_lo
	v_add_co_u32 v35, vcc_lo, v58, v52
	;; [unrolled: 2-line block ×3, first 2 shown]
	v_lshlrev_b64 v[41:42], 4, v[43:44]
	v_mul_lo_u32 v43, s22, v87
	v_add_co_ci_u32_e32 v6, vcc_lo, v65, v6, vcc_lo
	v_add_co_u32 v45, vcc_lo, v66, v31
	v_add_co_ci_u32_e32 v46, vcc_lo, v67, v32, vcc_lo
	v_add_co_u32 v49, vcc_lo, v68, v39
	v_add_co_ci_u32_e32 v50, vcc_lo, v69, v40, vcc_lo
	v_lshlrev_b64 v[39:40], 4, v[43:44]
	s_clause 0x3
	global_load_b128 v[15:18], v[15:16], off
	global_load_b128 v[19:22], v[19:20], off
	global_load_b128 v[23:26], v[23:24], off
	global_load_b128 v[27:30], v[27:28], off
	v_mul_lo_u32 v43, s22, v88
	v_mad_u64_u32 v[65:66], null, s12, v72, 0
	v_add_co_u32 v53, vcc_lo, v70, v41
	v_add_co_ci_u32_e32 v54, vcc_lo, v71, v42, vcc_lo
	v_add_co_u32 v58, vcc_lo, v73, v39
	v_dual_mov_b32 v62, v57 :: v_dual_mov_b32 v57, v64
	s_clause 0x1
	global_load_b128 v[31:34], v[33:34], off
	global_load_b128 v[35:38], v[35:36], off
	v_add_co_ci_u32_e32 v59, vcc_lo, v74, v40, vcc_lo
	s_clause 0x3
	global_load_b128 v[39:42], v[5:6], off
	global_load_b128 v[45:48], v[45:46], off
	;; [unrolled: 1-line block ×4, first 2 shown]
	v_lshlrev_b64 v[5:6], 4, v[43:44]
	v_mul_lo_u32 v43, s22, v89
	v_mov_b32_e32 v64, v66
	v_mad_u64_u32 v[67:68], null, s13, v60, v[57:58]
	v_lshlrev_b64 v[61:62], 4, v[61:62]
	v_add_co_u32 v5, vcc_lo, v75, v5
	s_delay_alu instid0(VALU_DEP_4)
	v_mad_u64_u32 v[70:71], null, s13, v72, v[64:65]
	v_lshlrev_b64 v[68:69], 4, v[43:44]
	v_mul_lo_u32 v43, s22, v90
	v_mov_b32_e32 v64, v67
	v_add_co_ci_u32_e32 v6, vcc_lo, v76, v6, vcc_lo
	v_add_co_u32 v67, vcc_lo, s0, v61
	v_mov_b32_e32 v66, v70
	v_add_co_ci_u32_e32 v71, vcc_lo, s8, v62, vcc_lo
	v_lshlrev_b64 v[61:62], 4, v[63:64]
	v_lshlrev_b64 v[63:64], 4, v[43:44]
	v_mul_lo_u32 v43, s22, v91
	v_add_co_u32 v67, vcc_lo, v67, v68
	v_lshlrev_b64 v[65:66], 4, v[65:66]
	v_add_co_ci_u32_e32 v68, vcc_lo, v71, v69, vcc_lo
	v_add_co_u32 v69, vcc_lo, s0, v61
	v_add_co_ci_u32_e32 v70, vcc_lo, s8, v62, vcc_lo
	global_load_b128 v[57:60], v[58:59], off
	v_add_co_u32 v65, vcc_lo, s0, v65
	v_lshlrev_b64 v[61:62], 4, v[43:44]
	v_add_co_ci_u32_e32 v66, vcc_lo, s8, v66, vcc_lo
	v_add_co_u32 v69, vcc_lo, v69, v63
	v_add_co_ci_u32_e32 v70, vcc_lo, v70, v64, vcc_lo
	s_delay_alu instid0(VALU_DEP_4) | instskip(NEXT) | instid1(VALU_DEP_4)
	v_add_co_u32 v73, vcc_lo, v65, v61
	v_add_co_ci_u32_e32 v74, vcc_lo, v66, v62, vcc_lo
	s_clause 0x3
	global_load_b128 v[61:64], v[5:6], off
	global_load_b128 v[65:68], v[67:68], off
	;; [unrolled: 1-line block ×4, first 2 shown]
	v_mul_u32_u24_e32 v5, 0x223, v0
	ds_store_b128 v1, v[7:10]
	s_waitcnt vmcnt(15)
	ds_store_b128 v2, v[11:14]
	v_and_b32_e32 v1, 0xffff, v4
	v_mad_u16 v2, 0x78, v93, v78
	v_mad_u16 v4, 0x78, v96, v81
	v_lshrrev_b32_e32 v155, 16, v5
	s_mov_b32 s8, 0x370991
	v_lshl_add_u32 v1, v1, 4, 0
	v_and_b32_e32 v2, 0xffff, v2
	s_mov_b32 s9, 0x3fedd6d0
	v_mul_lo_u16 v3, 0x78, v155
	s_mov_b32 s12, 0x3259b75e
	s_mov_b32 s13, 0x3fb79ee6
	;; [unrolled: 1-line block ×4, first 2 shown]
	v_sub_nc_u16 v0, v0, v3
	v_mad_u16 v3, 0x78, v95, v80
	s_delay_alu instid0(VALU_DEP_2) | instskip(SKIP_1) | instid1(VALU_DEP_3)
	v_and_b32_e32 v156, 0xffff, v0
	v_mad_u16 v0, 0x78, v94, v79
	v_and_b32_e32 v3, 0xffff, v3
	s_delay_alu instid0(VALU_DEP_3) | instskip(NEXT) | instid1(VALU_DEP_3)
	v_lshlrev_b32_e32 v5, 4, v156
	v_and_b32_e32 v0, 0xffff, v0
	s_delay_alu instid0(VALU_DEP_3) | instskip(NEXT) | instid1(VALU_DEP_2)
	v_lshl_add_u32 v3, v3, 4, 0
	v_lshl_add_u32 v0, v0, 4, 0
	s_waitcnt vmcnt(14)
	ds_store_b128 v1, v[15:18]
	v_lshl_add_u32 v1, v2, 4, 0
	v_and_b32_e32 v2, 0xffff, v4
	v_mad_u16 v4, 0x78, v97, v82
	s_waitcnt vmcnt(13)
	ds_store_b128 v1, v[19:22]
	v_lshl_add_u32 v1, v2, 4, 0
	s_waitcnt vmcnt(12)
	ds_store_b128 v0, v[23:26]
	s_waitcnt vmcnt(11)
	ds_store_b128 v3, v[27:30]
	v_and_b32_e32 v0, 0xffff, v4
	v_mad_u16 v2, 0x78, v98, v83
	v_mad_u16 v3, 0x78, v100, v85
	;; [unrolled: 1-line block ×3, first 2 shown]
	s_waitcnt vmcnt(10)
	ds_store_b128 v1, v[31:34]
	v_mad_u16 v1, 0x78, v99, v84
	v_lshl_add_u32 v0, v0, 4, 0
	v_and_b32_e32 v2, 0xffff, v2
	v_and_b32_e32 v3, 0xffff, v3
	s_delay_alu instid0(VALU_DEP_4)
	v_and_b32_e32 v1, 0xffff, v1
	s_waitcnt vmcnt(9)
	ds_store_b128 v0, v[35:38]
	v_lshl_add_u32 v0, v2, 4, 0
	v_and_b32_e32 v2, 0xffff, v4
	v_mad_u16 v4, 0x78, v102, v87
	v_lshl_add_u32 v1, v1, 4, 0
	v_lshl_add_u32 v3, v3, 4, 0
	s_waitcnt vmcnt(8)
	ds_store_b128 v0, v[39:42]
	v_lshl_add_u32 v0, v2, 4, 0
	s_waitcnt vmcnt(7)
	ds_store_b128 v1, v[45:48]
	s_waitcnt vmcnt(6)
	ds_store_b128 v3, v[49:52]
	v_and_b32_e32 v1, 0xffff, v4
	v_mad_u16 v2, 0x78, v103, v88
	v_mad_u16 v4, 0x78, v106, v91
	s_waitcnt vmcnt(5)
	ds_store_b128 v0, v[53:56]
	v_mad_u16 v0, 0x78, v104, v89
	v_lshl_add_u32 v1, v1, 4, 0
	v_and_b32_e32 v2, 0xffff, v2
	v_mad_u16 v3, 0x78, v105, v90
	s_delay_alu instid0(VALU_DEP_4) | instskip(NEXT) | instid1(VALU_DEP_2)
	v_and_b32_e32 v0, 0xffff, v0
	v_and_b32_e32 v3, 0xffff, v3
	s_delay_alu instid0(VALU_DEP_2) | instskip(NEXT) | instid1(VALU_DEP_2)
	v_lshl_add_u32 v0, v0, 4, 0
	v_lshl_add_u32 v3, v3, 4, 0
	s_waitcnt vmcnt(4)
	ds_store_b128 v1, v[57:60]
	v_lshl_add_u32 v1, v2, 4, 0
	v_and_b32_e32 v2, 0xffff, v4
	v_mul_u32_u24_e32 v4, 0x780, v155
	s_waitcnt vmcnt(3)
	ds_store_b128 v1, v[61:64]
	s_waitcnt vmcnt(2)
	ds_store_b128 v0, v[65:68]
	;; [unrolled: 2-line block ×3, first 2 shown]
	v_lshl_add_u32 v2, v2, 4, 0
	v_add3_u32 v49, 0, v4, v5
	s_waitcnt vmcnt(0)
	ds_store_b128 v2, v[73:76]
	s_waitcnt lgkmcnt(0)
	s_barrier
	buffer_gl0_inv
	ds_load_b128 v[4:7], v49
	ds_load_b128 v[36:39], v49 offset:1920
	ds_load_b128 v[40:43], v49 offset:3840
	;; [unrolled: 1-line block ×7, first 2 shown]
	s_waitcnt lgkmcnt(6)
	v_add_f64 v[0:1], v[4:5], v[36:37]
	v_add_f64 v[2:3], v[6:7], v[38:39]
	s_waitcnt lgkmcnt(5)
	s_delay_alu instid0(VALU_DEP_2) | instskip(NEXT) | instid1(VALU_DEP_2)
	v_add_f64 v[0:1], v[0:1], v[40:41]
	v_add_f64 v[2:3], v[2:3], v[42:43]
	s_waitcnt lgkmcnt(4)
	s_delay_alu instid0(VALU_DEP_2) | instskip(NEXT) | instid1(VALU_DEP_2)
	;; [unrolled: 4-line block ×6, first 2 shown]
	v_add_f64 v[45:46], v[0:1], v[12:13]
	v_add_f64 v[47:48], v[2:3], v[14:15]
	ds_load_b128 v[8:11], v49 offset:15360
	ds_load_b128 v[0:3], v49 offset:30720
	;; [unrolled: 1-line block ×7, first 2 shown]
	s_waitcnt lgkmcnt(5)
	v_add_f64 v[63:64], v[38:39], -v[2:3]
	v_add_f64 v[65:66], v[36:37], -v[0:1]
	v_add_f64 v[105:106], v[36:37], v[0:1]
	v_add_f64 v[107:108], v[38:39], v[2:3]
	s_waitcnt lgkmcnt(3)
	v_add_f64 v[71:72], v[42:43], -v[95:96]
	v_add_f64 v[67:68], v[40:41], -v[93:94]
	v_add_f64 v[77:78], v[40:41], v[93:94]
	v_add_f64 v[69:70], v[42:43], v[95:96]
	s_waitcnt lgkmcnt(1)
	v_add_f64 v[61:62], v[34:35], -v[59:60]
	v_add_f64 v[40:41], v[32:33], -v[57:58]
	ds_load_b128 v[36:39], v49 offset:24960
	v_add_f64 v[85:86], v[32:33], v[57:58]
	v_add_f64 v[51:52], v[34:35], v[59:60]
	;; [unrolled: 1-line block ×4, first 2 shown]
	v_mul_f64 v[109:110], v[63:64], s[28:29]
	v_mul_f64 v[111:112], v[65:66], s[28:29]
	;; [unrolled: 1-line block ×17, first 2 shown]
	v_add_f64 v[45:46], v[45:46], v[16:17]
	v_add_f64 v[47:48], v[47:48], v[18:19]
	v_mul_f64 v[209:210], v[61:62], s[28:29]
	v_mul_f64 v[211:212], v[61:62], s[46:47]
	v_fma_f64 v[42:43], v[105:106], s[8:9], -v[109:110]
	v_fma_f64 v[73:74], v[107:108], s[8:9], v[111:112]
	v_fma_f64 v[111:112], v[107:108], s[8:9], -v[111:112]
	v_fma_f64 v[145:146], v[107:108], s[18:19], v[127:128]
	;; [unrolled: 2-line block ×3, first 2 shown]
	v_fma_f64 v[147:148], v[105:106], s[22:23], -v[129:130]
	v_fma_f64 v[127:128], v[107:108], s[18:19], -v[127:128]
	v_fma_f64 v[129:130], v[105:106], s[22:23], v[129:130]
	v_fma_f64 v[121:122], v[51:52], s[20:21], v[83:84]
	v_fma_f64 v[153:154], v[105:106], s[26:27], -v[133:134]
	v_fma_f64 v[157:158], v[107:108], s[12:13], v[135:136]
	v_fma_f64 v[135:136], v[107:108], s[12:13], -v[135:136]
	;; [unrolled: 2-line block ×3, first 2 shown]
	v_fma_f64 v[109:110], v[105:106], s[8:9], v[109:110]
	v_fma_f64 v[149:150], v[107:108], s[20:21], v[131:132]
	v_add_f64 v[45:46], v[45:46], v[97:98]
	v_add_f64 v[47:48], v[47:48], v[99:100]
	v_fma_f64 v[131:132], v[107:108], s[20:21], -v[131:132]
	v_fma_f64 v[133:134], v[105:106], s[26:27], v[133:134]
	v_fma_f64 v[137:138], v[107:108], s[22:23], -v[137:138]
	v_fma_f64 v[139:140], v[105:106], s[30:31], v[139:140]
	v_fma_f64 v[91:92], v[77:78], s[18:19], v[91:92]
	v_fma_f64 v[89:90], v[69:70], s[18:19], -v[89:90]
	v_fma_f64 v[199:200], v[69:70], s[22:23], v[187:188]
	v_fma_f64 v[187:188], v[69:70], s[22:23], -v[187:188]
	;; [unrolled: 2-line block ×3, first 2 shown]
	v_fma_f64 v[217:218], v[85:86], s[22:23], -v[205:206]
	v_fma_f64 v[205:206], v[85:86], s[22:23], v[205:206]
	v_fma_f64 v[219:220], v[85:86], s[18:19], -v[207:208]
	v_fma_f64 v[207:208], v[85:86], s[18:19], v[207:208]
	;; [unrolled: 2-line block ×4, first 2 shown]
	v_fma_f64 v[83:84], v[51:52], s[20:21], -v[83:84]
	v_add_f64 v[34:35], v[4:5], v[42:43]
	v_add_f64 v[115:116], v[6:7], v[73:74]
	ds_load_b128 v[73:76], v49 offset:23040
	s_waitcnt lgkmcnt(1)
	v_add_f64 v[53:54], v[28:29], -v[36:37]
	v_add_f64 v[55:56], v[30:31], -v[38:39]
	v_add_f64 v[42:43], v[30:31], v[38:39]
	v_add_f64 v[151:152], v[4:5], v[109:110]
	;; [unrolled: 1-line block ×6, first 2 shown]
	s_waitcnt lgkmcnt(0)
	v_add_f64 v[49:50], v[26:27], -v[75:76]
	v_add_f64 v[139:140], v[4:5], v[139:140]
	v_add_f64 v[30:31], v[32:33], v[34:35]
	;; [unrolled: 1-line block ×4, first 2 shown]
	v_mul_f64 v[81:82], v[53:54], s[46:47]
	v_mul_f64 v[79:80], v[55:56], s[46:47]
	v_add_f64 v[32:33], v[26:27], v[75:76]
	v_add_f64 v[26:27], v[22:23], v[103:104]
	;; [unrolled: 1-line block ×5, first 2 shown]
	v_add_f64 v[47:48], v[24:25], -v[73:74]
	v_fma_f64 v[28:29], v[85:86], s[20:21], -v[87:88]
	v_mul_f64 v[75:76], v[49:50], s[24:25]
	v_add_f64 v[24:25], v[20:21], v[101:102]
	v_fma_f64 v[87:88], v[85:86], s[20:21], v[87:88]
	v_add_f64 v[113:114], v[121:122], v[113:114]
	v_mul_f64 v[121:122], v[63:64], s[34:35]
	v_fma_f64 v[125:126], v[42:43], s[12:13], v[81:82]
	v_fma_f64 v[81:82], v[42:43], s[12:13], -v[81:82]
	v_add_f64 v[115:116], v[117:118], v[36:37]
	v_add_f64 v[117:118], v[119:120], v[38:39]
	v_add_f64 v[36:37], v[20:21], -v[101:102]
	v_add_f64 v[38:39], v[22:23], -v[103:104]
	v_mul_f64 v[73:74], v[47:48], s[24:25]
	v_fma_f64 v[119:120], v[45:46], s[12:13], -v[79:80]
	v_add_f64 v[123:124], v[28:29], v[30:31]
	v_add_f64 v[28:29], v[12:13], -v[97:98]
	v_add_f64 v[30:31], v[14:15], -v[99:100]
	v_fma_f64 v[101:102], v[34:35], s[22:23], -v[75:76]
	v_add_f64 v[20:21], v[10:11], -v[18:19]
	v_add_f64 v[22:23], v[12:13], v[97:98]
	v_add_f64 v[14:15], v[14:15], v[99:100]
	v_mul_f64 v[97:98], v[65:66], s[36:37]
	v_mul_f64 v[99:100], v[63:64], s[42:43]
	v_add_f64 v[12:13], v[8:9], v[16:17]
	v_add_f64 v[10:11], v[10:11], v[18:19]
	v_mul_f64 v[18:19], v[65:66], s[40:41]
	v_add_f64 v[8:9], v[8:9], -v[16:17]
	v_fma_f64 v[79:80], v[45:46], s[12:13], v[79:80]
	v_fma_f64 v[75:76], v[34:35], s[22:23], v[75:76]
	v_add_f64 v[113:114], v[125:126], v[113:114]
	v_mul_f64 v[125:126], v[63:64], s[46:47]
	v_add_f64 v[115:116], v[115:116], v[57:58]
	v_add_f64 v[117:118], v[117:118], v[59:60]
	v_mul_f64 v[59:60], v[36:37], s[36:37]
	v_mul_f64 v[57:58], v[38:39], s[36:37]
	v_add_f64 v[103:104], v[119:120], v[123:124]
	v_fma_f64 v[119:120], v[32:33], s[22:23], v[73:74]
	v_mul_f64 v[123:124], v[63:64], s[48:49]
	v_mul_f64 v[63:64], v[30:31], s[40:41]
	;; [unrolled: 1-line block ×3, first 2 shown]
	v_fma_f64 v[73:74], v[32:33], s[22:23], -v[73:74]
	v_fma_f64 v[163:164], v[107:108], s[26:27], v[97:98]
	v_fma_f64 v[165:166], v[105:106], s[38:39], -v[99:100]
	v_fma_f64 v[167:168], v[107:108], s[26:27], -v[97:98]
	v_fma_f64 v[169:170], v[105:106], s[38:39], v[99:100]
	v_fma_f64 v[171:172], v[107:108], s[30:31], v[18:19]
	v_fma_f64 v[173:174], v[107:108], s[30:31], -v[18:19]
	v_mul_f64 v[18:19], v[8:9], s[42:43]
	v_fma_f64 v[143:144], v[105:106], s[12:13], -v[125:126]
	v_fma_f64 v[125:126], v[105:106], s[12:13], v[125:126]
	v_add_f64 v[93:94], v[115:116], v[93:94]
	v_add_f64 v[95:96], v[117:118], v[95:96]
	v_mul_f64 v[115:116], v[65:66], s[42:43]
	v_mul_f64 v[65:66], v[28:29], s[40:41]
	v_fma_f64 v[117:118], v[24:25], s[26:27], -v[57:58]
	v_fma_f64 v[57:58], v[24:25], s[26:27], v[57:58]
	v_add_f64 v[101:102], v[101:102], v[103:104]
	v_fma_f64 v[103:104], v[26:27], s[26:27], v[59:60]
	v_add_f64 v[113:114], v[119:120], v[113:114]
	v_fma_f64 v[119:120], v[105:106], s[18:19], -v[121:122]
	v_fma_f64 v[121:122], v[105:106], s[18:19], v[121:122]
	v_fma_f64 v[141:142], v[105:106], s[20:21], -v[123:124]
	v_fma_f64 v[123:124], v[105:106], s[20:21], v[123:124]
	v_fma_f64 v[181:182], v[12:13], s[38:39], -v[16:17]
	v_add_f64 v[105:106], v[6:7], v[149:150]
	v_add_f64 v[133:134], v[6:7], v[167:168]
	v_fma_f64 v[59:60], v[26:27], s[26:27], -v[59:60]
	v_fma_f64 v[16:17], v[12:13], s[38:39], v[16:17]
	v_fma_f64 v[185:186], v[10:11], s[38:39], v[18:19]
	v_fma_f64 v[18:19], v[10:11], s[38:39], -v[18:19]
	v_add_f64 v[0:1], v[93:94], v[0:1]
	v_add_f64 v[2:3], v[95:96], v[2:3]
	v_fma_f64 v[93:94], v[22:23], s[30:31], -v[63:64]
	v_fma_f64 v[97:98], v[14:15], s[30:31], v[65:66]
	v_fma_f64 v[175:176], v[107:108], s[38:39], v[115:116]
	v_fma_f64 v[177:178], v[107:108], s[38:39], -v[115:116]
	v_add_f64 v[95:96], v[117:118], v[101:102]
	v_add_f64 v[101:102], v[6:7], v[127:128]
	;; [unrolled: 1-line block ×10, first 2 shown]
	v_mul_f64 v[153:154], v[71:72], s[46:47]
	v_mul_f64 v[157:158], v[71:72], s[36:37]
	;; [unrolled: 1-line block ×4, first 2 shown]
	v_add_f64 v[103:104], v[4:5], v[141:142]
	v_add_f64 v[115:116], v[4:5], v[125:126]
	;; [unrolled: 1-line block ×5, first 2 shown]
	v_fma_f64 v[63:64], v[22:23], s[30:31], v[63:64]
	v_fma_f64 v[65:66], v[14:15], s[30:31], -v[65:66]
	v_add_f64 v[149:150], v[6:7], v[177:178]
	v_add_f64 v[179:180], v[93:94], v[95:96]
	;; [unrolled: 1-line block ×8, first 2 shown]
	v_mul_f64 v[159:160], v[71:72], s[42:43]
	v_mul_f64 v[165:166], v[71:72], s[44:45]
	;; [unrolled: 1-line block ×3, first 2 shown]
	v_add_f64 v[95:96], v[4:5], v[119:120]
	v_add_f64 v[97:98], v[6:7], v[145:146]
	;; [unrolled: 1-line block ×5, first 2 shown]
	v_fma_f64 v[167:168], v[77:78], s[12:13], -v[153:154]
	v_fma_f64 v[153:154], v[77:78], s[12:13], v[153:154]
	v_fma_f64 v[169:170], v[77:78], s[26:27], -v[157:158]
	v_fma_f64 v[157:158], v[77:78], s[26:27], v[157:158]
	;; [unrolled: 2-line block ×4, first 2 shown]
	v_add_f64 v[4:5], v[181:182], v[179:180]
	v_mul_f64 v[181:182], v[67:68], s[36:37]
	v_add_f64 v[6:7], v[185:186], v[183:184]
	v_mul_f64 v[183:184], v[67:68], s[42:43]
	v_mul_f64 v[185:186], v[67:68], s[54:55]
	v_fma_f64 v[171:172], v[77:78], s[38:39], -v[159:160]
	v_fma_f64 v[159:160], v[77:78], s[38:39], v[159:160]
	v_fma_f64 v[177:178], v[77:78], s[20:21], -v[165:166]
	v_fma_f64 v[165:166], v[77:78], s[20:21], v[165:166]
	;; [unrolled: 2-line block ×3, first 2 shown]
	v_mul_f64 v[77:78], v[67:68], s[46:47]
	v_mul_f64 v[67:68], v[67:68], s[50:51]
	v_fma_f64 v[193:194], v[69:70], s[26:27], v[181:182]
	v_fma_f64 v[181:182], v[69:70], s[26:27], -v[181:182]
	v_fma_f64 v[195:196], v[69:70], s[38:39], v[183:184]
	v_fma_f64 v[183:184], v[69:70], s[38:39], -v[183:184]
	;; [unrolled: 2-line block ×3, first 2 shown]
	v_add_f64 v[71:72], v[71:72], v[147:148]
	v_fma_f64 v[191:192], v[69:70], s[12:13], v[77:78]
	v_fma_f64 v[77:78], v[69:70], s[12:13], -v[77:78]
	v_fma_f64 v[203:204], v[69:70], s[8:9], v[67:68]
	v_fma_f64 v[67:68], v[69:70], s[8:9], -v[67:68]
	v_add_f64 v[69:70], v[91:92], v[151:152]
	v_mul_f64 v[91:92], v[61:62], s[36:37]
	v_mul_f64 v[151:152], v[61:62], s[58:59]
	;; [unrolled: 1-line block ×4, first 2 shown]
	v_add_f64 v[77:78], v[77:78], v[101:102]
	v_add_f64 v[101:102], v[157:158], v[107:108]
	;; [unrolled: 1-line block ×4, first 2 shown]
	v_fma_f64 v[213:214], v[85:86], s[26:27], -v[91:92]
	v_fma_f64 v[91:92], v[85:86], s[26:27], v[91:92]
	v_fma_f64 v[215:216], v[85:86], s[38:39], -v[151:152]
	v_fma_f64 v[151:152], v[85:86], s[38:39], v[151:152]
	;; [unrolled: 2-line block ×3, first 2 shown]
	v_add_f64 v[85:86], v[89:90], v[93:94]
	v_add_f64 v[89:90], v[167:168], v[95:96]
	v_mul_f64 v[87:88], v[40:41], s[36:37]
	v_add_f64 v[93:94], v[191:192], v[97:98]
	v_add_f64 v[95:96], v[153:154], v[99:100]
	;; [unrolled: 1-line block ×22, first 2 shown]
	v_mul_f64 v[145:146], v[53:54], s[42:43]
	v_add_f64 v[67:68], v[67:68], v[149:150]
	v_mul_f64 v[159:160], v[38:39], s[34:35]
	v_add_f64 v[69:70], v[79:80], v[69:70]
	v_fma_f64 v[79:80], v[45:46], s[22:23], -v[147:148]
	v_fma_f64 v[147:148], v[45:46], s[22:23], v[147:148]
	v_add_f64 v[101:102], v[151:152], v[101:102]
	v_mul_f64 v[151:152], v[55:56], s[50:51]
	v_add_f64 v[61:62], v[61:62], v[71:72]
	v_add_f64 v[83:84], v[83:84], v[85:86]
	;; [unrolled: 1-line block ×3, first 2 shown]
	v_fma_f64 v[89:90], v[51:52], s[26:27], v[87:88]
	v_fma_f64 v[87:88], v[51:52], s[26:27], -v[87:88]
	v_add_f64 v[91:92], v[91:92], v[95:96]
	v_add_f64 v[95:96], v[215:216], v[97:98]
	v_mul_f64 v[97:98], v[40:41], s[52:53]
	v_add_f64 v[105:106], v[217:218], v[105:106]
	v_add_f64 v[117:118], v[207:208], v[117:118]
	;; [unrolled: 1-line block ×13, first 2 shown]
	v_mul_f64 v[93:94], v[40:41], s[58:59]
	v_add_f64 v[77:78], v[87:88], v[77:78]
	v_add_f64 v[79:80], v[79:80], v[95:96]
	v_fma_f64 v[141:142], v[51:52], s[22:23], v[97:98]
	v_fma_f64 v[97:98], v[51:52], s[22:23], -v[97:98]
	v_mul_f64 v[95:96], v[55:56], s[40:41]
	v_add_f64 v[57:58], v[57:58], v[69:70]
	v_add_f64 v[73:74], v[73:74], v[81:82]
	v_fma_f64 v[87:88], v[51:52], s[38:39], v[93:94]
	v_fma_f64 v[93:94], v[51:52], s[38:39], -v[93:94]
	v_add_f64 v[107:108], v[141:142], v[107:108]
	v_mul_f64 v[141:142], v[55:56], s[42:43]
	v_add_f64 v[97:98], v[97:98], v[111:112]
	v_add_f64 v[57:58], v[63:64], v[57:58]
	;; [unrolled: 1-line block ×3, first 2 shown]
	v_mul_f64 v[73:74], v[30:31], s[44:45]
	v_add_f64 v[87:88], v[87:88], v[99:100]
	v_mul_f64 v[99:100], v[40:41], s[56:57]
	v_add_f64 v[93:94], v[93:94], v[103:104]
	v_mul_f64 v[103:104], v[40:41], s[28:29]
	v_fma_f64 v[149:150], v[45:46], s[38:39], -v[141:142]
	v_fma_f64 v[141:142], v[45:46], s[38:39], v[141:142]
	v_add_f64 v[59:60], v[65:66], v[59:60]
	v_fma_f64 v[143:144], v[51:52], s[18:19], v[99:100]
	v_fma_f64 v[99:100], v[51:52], s[18:19], -v[99:100]
	v_fma_f64 v[111:112], v[51:52], s[8:9], v[103:104]
	v_add_f64 v[85:86], v[149:150], v[85:86]
	v_mul_f64 v[149:150], v[55:56], s[48:49]
	v_add_f64 v[91:92], v[141:142], v[91:92]
	v_fma_f64 v[141:142], v[45:46], s[8:9], -v[151:152]
	v_fma_f64 v[151:152], v[45:46], s[8:9], v[151:152]
	v_fma_f64 v[103:104], v[51:52], s[8:9], -v[103:104]
	v_add_f64 v[115:116], v[143:144], v[115:116]
	v_mul_f64 v[143:144], v[53:54], s[52:53]
	v_add_f64 v[99:100], v[99:100], v[119:120]
	v_fma_f64 v[119:120], v[42:43], s[38:39], v[145:146]
	v_fma_f64 v[145:146], v[42:43], s[38:39], -v[145:146]
	v_add_f64 v[111:112], v[111:112], v[123:124]
	v_mul_f64 v[123:124], v[53:54], s[50:51]
	v_fma_f64 v[147:148], v[45:46], s[20:21], -v[149:150]
	v_fma_f64 v[149:150], v[45:46], s[20:21], v[149:150]
	v_add_f64 v[105:106], v[141:142], v[105:106]
	v_mul_f64 v[141:142], v[49:50], s[54:55]
	v_add_f64 v[109:110], v[151:152], v[109:110]
	v_fma_f64 v[151:152], v[45:46], s[30:31], -v[95:96]
	v_add_f64 v[103:104], v[103:104], v[127:128]
	v_fma_f64 v[95:96], v[45:46], s[30:31], v[95:96]
	v_fma_f64 v[83:84], v[42:43], s[22:23], v[143:144]
	v_fma_f64 v[143:144], v[42:43], s[22:23], -v[143:144]
	v_add_f64 v[89:90], v[119:120], v[89:90]
	v_mul_f64 v[119:120], v[53:54], s[48:49]
	v_add_f64 v[77:78], v[145:146], v[77:78]
	v_fma_f64 v[145:146], v[42:43], s[8:9], v[123:124]
	v_fma_f64 v[123:124], v[42:43], s[8:9], -v[123:124]
	v_add_f64 v[113:114], v[147:148], v[113:114]
	v_mul_f64 v[147:148], v[49:50], s[56:57]
	v_add_f64 v[117:118], v[149:150], v[117:118]
	v_fma_f64 v[149:150], v[34:35], s[30:31], -v[141:142]
	v_fma_f64 v[141:142], v[34:35], s[30:31], v[141:142]
	v_add_f64 v[121:122], v[151:152], v[121:122]
	v_mul_f64 v[151:152], v[49:50], s[48:49]
	v_add_f64 v[95:96], v[95:96], v[125:126]
	v_add_f64 v[83:84], v[83:84], v[87:88]
	v_mul_f64 v[87:88], v[53:54], s[40:41]
	v_add_f64 v[93:94], v[143:144], v[93:94]
	v_fma_f64 v[143:144], v[42:43], s[20:21], v[119:120]
	v_fma_f64 v[119:120], v[42:43], s[20:21], -v[119:120]
	v_add_f64 v[107:108], v[145:146], v[107:108]
	v_mul_f64 v[145:146], v[47:48], s[54:55]
	v_add_f64 v[97:98], v[123:124], v[97:98]
	v_fma_f64 v[75:76], v[34:35], s[18:19], -v[147:148]
	v_fma_f64 v[147:148], v[34:35], s[18:19], v[147:148]
	v_add_f64 v[85:86], v[149:150], v[85:86]
	v_mul_f64 v[149:150], v[49:50], s[42:43]
	v_add_f64 v[91:92], v[141:142], v[91:92]
	v_fma_f64 v[141:142], v[34:35], s[20:21], -v[151:152]
	v_fma_f64 v[151:152], v[34:35], s[20:21], v[151:152]
	v_fma_f64 v[123:124], v[42:43], s[30:31], v[87:88]
	v_fma_f64 v[87:88], v[42:43], s[30:31], -v[87:88]
	v_add_f64 v[115:116], v[143:144], v[115:116]
	v_mul_f64 v[143:144], v[47:48], s[56:57]
	v_add_f64 v[99:100], v[119:120], v[99:100]
	v_fma_f64 v[119:120], v[32:33], s[30:31], v[145:146]
	v_fma_f64 v[145:146], v[32:33], s[30:31], -v[145:146]
	v_add_f64 v[75:76], v[75:76], v[79:80]
	v_add_f64 v[101:102], v[147:148], v[101:102]
	v_mul_f64 v[147:148], v[38:39], s[52:53]
	v_add_f64 v[105:106], v[141:142], v[105:106]
	v_mul_f64 v[141:142], v[36:37], s[52:53]
	;; [unrolled: 2-line block ×3, first 2 shown]
	s_mov_b32 s53, 0x3fe9895b
	s_mov_b32 s52, s36
	s_delay_alu instid0(SALU_CYCLE_1)
	v_mul_f64 v[65:66], v[53:54], s[52:53]
	v_mul_f64 v[53:54], v[53:54], s[56:57]
	;; [unrolled: 1-line block ×3, first 2 shown]
	v_add_f64 v[111:112], v[123:124], v[111:112]
	v_mul_f64 v[123:124], v[47:48], s[48:49]
	s_mov_b32 s49, 0x3fefdd0d
	v_fma_f64 v[81:82], v[32:33], s[18:19], v[143:144]
	v_fma_f64 v[143:144], v[32:33], s[18:19], -v[143:144]
	v_add_f64 v[89:90], v[119:120], v[89:90]
	v_mul_f64 v[119:120], v[47:48], s[42:43]
	s_mov_b32 s48, s46
	v_add_f64 v[77:78], v[145:146], v[77:78]
	v_mul_f64 v[79:80], v[49:50], s[48:49]
	v_mul_f64 v[127:128], v[47:48], s[48:49]
	v_add_f64 v[87:88], v[87:88], v[103:104]
	v_mul_f64 v[103:104], v[36:37], s[34:35]
	v_fma_f64 v[157:158], v[42:43], s[26:27], v[65:66]
	v_fma_f64 v[65:66], v[42:43], s[26:27], -v[65:66]
	v_fma_f64 v[145:146], v[32:33], s[20:21], v[123:124]
	v_fma_f64 v[123:124], v[32:33], s[20:21], -v[123:124]
	v_add_f64 v[81:82], v[81:82], v[83:84]
	v_fma_f64 v[83:84], v[34:35], s[38:39], -v[149:150]
	v_add_f64 v[93:94], v[143:144], v[93:94]
	v_fma_f64 v[143:144], v[32:33], s[38:39], v[119:120]
	v_fma_f64 v[149:150], v[34:35], s[38:39], v[149:150]
	v_fma_f64 v[119:120], v[32:33], s[38:39], -v[119:120]
	v_add_f64 v[107:108], v[145:146], v[107:108]
	v_fma_f64 v[145:146], v[34:35], s[12:13], -v[79:80]
	v_add_f64 v[97:98], v[123:124], v[97:98]
	v_mul_f64 v[123:124], v[36:37], s[28:29]
	v_add_f64 v[83:84], v[83:84], v[113:114]
	v_fma_f64 v[113:114], v[24:25], s[22:23], -v[147:148]
	v_add_f64 v[115:116], v[143:144], v[115:116]
	v_mul_f64 v[143:144], v[38:39], s[40:41]
	v_add_f64 v[117:118], v[149:150], v[117:118]
	v_fma_f64 v[149:150], v[26:27], s[22:23], v[141:142]
	v_fma_f64 v[147:148], v[24:25], s[22:23], v[147:148]
	v_add_f64 v[99:100], v[119:120], v[99:100]
	v_mul_f64 v[119:120], v[36:37], s[40:41]
	v_fma_f64 v[141:142], v[26:27], s[22:23], -v[141:142]
	v_fma_f64 v[79:80], v[34:35], s[12:13], v[79:80]
	v_add_f64 v[121:122], v[145:146], v[121:122]
	v_fma_f64 v[145:146], v[24:25], s[8:9], -v[151:152]
	v_fma_f64 v[69:70], v[26:27], s[8:9], v[123:124]
	v_fma_f64 v[151:152], v[24:25], s[8:9], v[151:152]
	v_fma_f64 v[123:124], v[26:27], s[8:9], -v[123:124]
	v_add_f64 v[85:86], v[113:114], v[85:86]
	v_mul_f64 v[113:114], v[28:29], s[44:45]
	v_add_f64 v[89:90], v[149:150], v[89:90]
	v_fma_f64 v[149:150], v[24:25], s[30:31], -v[143:144]
	v_add_f64 v[91:92], v[147:148], v[91:92]
	v_fma_f64 v[147:148], v[26:27], s[30:31], v[119:120]
	v_add_f64 v[77:78], v[141:142], v[77:78]
	v_mul_f64 v[141:142], v[38:39], s[48:49]
	v_fma_f64 v[143:144], v[24:25], s[30:31], v[143:144]
	v_fma_f64 v[119:120], v[26:27], s[30:31], -v[119:120]
	v_add_f64 v[79:80], v[79:80], v[95:96]
	v_fma_f64 v[95:96], v[24:25], s[18:19], v[159:160]
	v_add_f64 v[75:76], v[145:146], v[75:76]
	v_mul_f64 v[145:146], v[40:41], s[46:47]
	v_add_f64 v[69:70], v[69:70], v[81:82]
	v_fma_f64 v[81:82], v[22:23], s[20:21], -v[73:74]
	v_add_f64 v[101:102], v[151:152], v[101:102]
	v_mul_f64 v[151:152], v[36:37], s[48:49]
	v_add_f64 v[93:94], v[123:124], v[93:94]
	v_fma_f64 v[123:124], v[14:15], s[20:21], v[113:114]
	v_mul_f64 v[40:41], v[40:41], s[40:41]
	v_add_f64 v[105:106], v[149:150], v[105:106]
	v_mul_f64 v[149:150], v[30:31], s[46:47]
	v_add_f64 v[107:108], v[147:148], v[107:108]
	v_fma_f64 v[147:148], v[24:25], s[12:13], -v[141:142]
	v_add_f64 v[109:110], v[143:144], v[109:110]
	v_mul_f64 v[143:144], v[55:56], s[52:53]
	v_mul_f64 v[55:56], v[55:56], s[56:57]
	v_fma_f64 v[73:74], v[22:23], s[20:21], v[73:74]
	v_fma_f64 v[113:114], v[14:15], s[20:21], -v[113:114]
	v_fma_f64 v[141:142], v[24:25], s[12:13], v[141:142]
	v_add_f64 v[79:80], v[95:96], v[79:80]
	v_fma_f64 v[63:64], v[51:52], s[12:13], v[145:146]
	v_fma_f64 v[145:146], v[51:52], s[12:13], -v[145:146]
	v_add_f64 v[81:82], v[81:82], v[85:86]
	v_fma_f64 v[85:86], v[26:27], s[12:13], v[151:152]
	v_fma_f64 v[151:152], v[26:27], s[12:13], -v[151:152]
	;; [unrolled: 3-line block ×3, first 2 shown]
	v_add_f64 v[51:52], v[119:120], v[97:98]
	v_mul_f64 v[119:120], v[28:29], s[46:47]
	v_fma_f64 v[97:98], v[22:23], s[12:13], -v[149:150]
	v_add_f64 v[83:84], v[147:148], v[83:84]
	v_mul_f64 v[147:148], v[30:31], s[52:53]
	v_fma_f64 v[161:162], v[45:46], s[18:19], -v[55:56]
	v_add_f64 v[71:72], v[113:114], v[77:78]
	v_mul_f64 v[77:78], v[30:31], s[28:29]
	v_fma_f64 v[113:114], v[14:15], s[26:27], v[153:154]
	v_add_f64 v[117:118], v[141:142], v[117:118]
	v_mul_f64 v[141:142], v[20:21], s[50:51]
	v_add_f64 v[63:64], v[63:64], v[131:132]
	v_fma_f64 v[131:132], v[45:46], s[26:27], -v[143:144]
	v_add_f64 v[135:136], v[145:146], v[135:136]
	v_fma_f64 v[143:144], v[45:46], s[26:27], v[143:144]
	v_mul_f64 v[145:146], v[49:50], s[28:29]
	v_add_f64 v[85:86], v[85:86], v[115:116]
	v_mul_f64 v[115:116], v[47:48], s[28:29]
	v_add_f64 v[123:124], v[123:124], v[139:140]
	v_fma_f64 v[139:140], v[42:43], s[18:19], v[53:54]
	v_mul_f64 v[49:50], v[49:50], s[36:37]
	v_fma_f64 v[45:46], v[45:46], s[18:19], v[55:56]
	v_mul_f64 v[47:48], v[47:48], s[36:37]
	v_add_f64 v[40:41], v[40:41], v[67:68]
	v_fma_f64 v[42:43], v[42:43], s[18:19], -v[53:54]
	v_fma_f64 v[67:68], v[14:15], s[12:13], v[119:120]
	v_add_f64 v[55:56], v[73:74], v[91:92]
	v_add_f64 v[53:54], v[97:98], v[75:76]
	v_fma_f64 v[73:74], v[22:23], s[12:13], v[149:150]
	v_fma_f64 v[75:76], v[14:15], s[12:13], -v[119:120]
	v_fma_f64 v[91:92], v[22:23], s[26:27], -v[147:148]
	v_mul_f64 v[97:98], v[28:29], s[28:29]
	v_fma_f64 v[119:120], v[32:33], s[12:13], v[127:128]
	v_fma_f64 v[127:128], v[32:33], s[12:13], -v[127:128]
	v_mul_f64 v[149:150], v[38:39], s[42:43]
	v_add_f64 v[137:138], v[161:162], v[137:138]
	v_mul_f64 v[38:39], v[38:39], s[44:45]
	v_add_f64 v[99:100], v[151:152], v[99:100]
	v_add_f64 v[107:108], v[113:114], v[107:108]
	v_mul_f64 v[151:152], v[8:9], s[50:51]
	v_fma_f64 v[161:162], v[12:13], s[8:9], -v[141:142]
	v_fma_f64 v[147:148], v[22:23], s[26:27], v[147:148]
	v_add_f64 v[63:64], v[157:158], v[63:64]
	v_add_f64 v[125:126], v[131:132], v[129:130]
	v_fma_f64 v[129:130], v[24:25], s[18:19], -v[159:160]
	v_add_f64 v[131:132], v[143:144], v[133:134]
	v_add_f64 v[65:66], v[65:66], v[135:136]
	v_fma_f64 v[133:134], v[34:35], s[8:9], -v[145:146]
	v_mul_f64 v[135:136], v[30:31], s[42:43]
	v_fma_f64 v[143:144], v[32:33], s[8:9], v[115:116]
	v_fma_f64 v[145:146], v[34:35], s[8:9], v[145:146]
	v_mul_f64 v[157:158], v[36:37], s[42:43]
	v_add_f64 v[123:124], v[139:140], v[123:124]
	v_fma_f64 v[115:116], v[32:33], s[8:9], -v[115:116]
	v_fma_f64 v[139:140], v[34:35], s[26:27], -v[49:50]
	v_add_f64 v[45:46], v[45:46], v[61:62]
	v_fma_f64 v[61:62], v[32:33], s[26:27], v[47:48]
	v_mul_f64 v[36:37], v[36:37], s[44:45]
	v_fma_f64 v[34:35], v[34:35], s[26:27], v[49:50]
	v_add_f64 v[40:41], v[42:43], v[40:41]
	v_fma_f64 v[32:33], v[32:33], s[26:27], -v[47:48]
	v_add_f64 v[42:43], v[67:68], v[69:70]
	v_fma_f64 v[67:68], v[14:15], s[26:27], -v[153:154]
	v_add_f64 v[47:48], v[73:74], v[101:102]
	v_add_f64 v[73:74], v[75:76], v[93:94]
	v_fma_f64 v[75:76], v[14:15], s[8:9], v[97:98]
	v_add_f64 v[91:92], v[91:92], v[105:106]
	v_fma_f64 v[97:98], v[14:15], s[8:9], -v[97:98]
	v_fma_f64 v[101:102], v[26:27], s[18:19], v[103:104]
	v_mul_f64 v[105:106], v[28:29], s[42:43]
	v_add_f64 v[87:88], v[127:128], v[87:88]
	v_fma_f64 v[103:104], v[26:27], s[18:19], -v[103:104]
	v_fma_f64 v[69:70], v[22:23], s[8:9], -v[77:78]
	v_fma_f64 v[77:78], v[22:23], s[8:9], v[77:78]
	v_add_f64 v[93:94], v[119:120], v[111:112]
	v_fma_f64 v[49:50], v[10:11], s[8:9], v[151:152]
	v_add_f64 v[109:110], v[147:148], v[109:110]
	v_add_f64 v[111:112], v[129:130], v[121:122]
	v_fma_f64 v[121:122], v[24:25], s[38:39], -v[149:150]
	v_mul_f64 v[129:130], v[30:31], s[56:57]
	v_add_f64 v[113:114], v[133:134], v[125:126]
	v_fma_f64 v[119:120], v[22:23], s[38:39], -v[135:136]
	v_add_f64 v[63:64], v[143:144], v[63:64]
	v_add_f64 v[125:126], v[145:146], v[131:132]
	v_fma_f64 v[127:128], v[26:27], s[38:39], v[157:158]
	v_fma_f64 v[131:132], v[24:25], s[38:39], v[149:150]
	v_mul_f64 v[133:134], v[28:29], s[56:57]
	v_add_f64 v[65:66], v[115:116], v[65:66]
	v_add_f64 v[115:116], v[139:140], v[137:138]
	v_fma_f64 v[137:138], v[26:27], s[38:39], -v[157:158]
	v_fma_f64 v[139:140], v[24:25], s[20:21], -v[38:39]
	v_add_f64 v[61:62], v[61:62], v[123:124]
	v_fma_f64 v[123:124], v[26:27], s[20:21], v[36:37]
	v_add_f64 v[34:35], v[34:35], v[45:46]
	v_mul_f64 v[30:31], v[30:31], s[24:25]
	v_add_f64 v[32:33], v[32:33], v[40:41]
	v_fma_f64 v[24:25], v[24:25], s[20:21], v[38:39]
	v_fma_f64 v[26:27], v[26:27], s[20:21], -v[36:37]
	v_mul_f64 v[28:29], v[28:29], s[24:25]
	v_add_f64 v[36:37], v[67:68], v[51:52]
	v_mul_f64 v[51:52], v[8:9], s[40:41]
	v_mul_f64 v[40:41], v[20:21], s[40:41]
	v_add_f64 v[45:46], v[75:76], v[85:86]
	v_add_f64 v[75:76], v[97:98], v[99:100]
	v_add_f64 v[87:88], v[103:104], v[87:88]
	v_fma_f64 v[97:98], v[14:15], s[38:39], -v[105:106]
	v_mul_f64 v[99:100], v[8:9], s[36:37]
	v_add_f64 v[38:39], v[69:70], v[83:84]
	v_add_f64 v[67:68], v[77:78], v[117:118]
	v_mul_f64 v[69:70], v[20:21], s[56:57]
	v_add_f64 v[77:78], v[101:102], v[93:94]
	v_fma_f64 v[83:84], v[14:15], s[38:39], v[105:106]
	v_mul_f64 v[93:94], v[20:21], s[36:37]
	v_fma_f64 v[95:96], v[22:23], s[38:39], v[135:136]
	v_mul_f64 v[103:104], v[20:21], s[44:45]
	v_mul_f64 v[85:86], v[8:9], s[56:57]
	;; [unrolled: 1-line block ×3, first 2 shown]
	v_add_f64 v[105:106], v[121:122], v[113:114]
	v_add_f64 v[101:102], v[119:120], v[111:112]
	v_fma_f64 v[113:114], v[22:23], s[18:19], -v[129:130]
	v_mul_f64 v[111:112], v[8:9], s[44:45]
	v_add_f64 v[63:64], v[127:128], v[63:64]
	v_add_f64 v[117:118], v[131:132], v[125:126]
	v_fma_f64 v[119:120], v[14:15], s[18:19], v[133:134]
	v_fma_f64 v[127:128], v[22:23], s[18:19], v[129:130]
	v_mul_f64 v[129:130], v[20:21], s[24:25]
	v_fma_f64 v[121:122], v[12:13], s[8:9], v[141:142]
	v_add_f64 v[65:66], v[137:138], v[65:66]
	v_add_f64 v[115:116], v[139:140], v[115:116]
	;; [unrolled: 1-line block ×3, first 2 shown]
	v_fma_f64 v[123:124], v[14:15], s[18:19], -v[133:134]
	v_fma_f64 v[131:132], v[22:23], s[22:23], -v[30:31]
	v_fma_f64 v[30:31], v[22:23], s[22:23], v[30:31]
	v_add_f64 v[24:25], v[24:25], v[34:35]
	v_add_f64 v[26:27], v[26:27], v[32:33]
	v_mul_f64 v[32:33], v[20:21], s[48:49]
	v_fma_f64 v[133:134], v[14:15], s[22:23], v[28:29]
	v_mul_f64 v[34:35], v[8:9], s[48:49]
	v_fma_f64 v[137:138], v[10:11], s[30:31], v[51:52]
	v_fma_f64 v[125:126], v[10:11], s[8:9], -v[151:152]
	v_fma_f64 v[8:9], v[12:13], s[30:31], -v[40:41]
	v_fma_f64 v[40:41], v[12:13], s[30:31], v[40:41]
	v_fma_f64 v[28:29], v[14:15], s[22:23], -v[28:29]
	v_fma_f64 v[51:52], v[10:11], s[30:31], -v[51:52]
	v_add_f64 v[87:88], v[97:98], v[87:88]
	v_fma_f64 v[97:98], v[10:11], s[26:27], v[99:100]
	v_fma_f64 v[99:100], v[10:11], s[26:27], -v[99:100]
	v_fma_f64 v[139:140], v[12:13], s[18:19], -v[69:70]
	v_fma_f64 v[69:70], v[12:13], s[18:19], v[69:70]
	v_add_f64 v[14:15], v[16:17], v[57:58]
	v_add_f64 v[79:80], v[95:96], v[79:80]
	v_fma_f64 v[95:96], v[12:13], s[26:27], -v[93:94]
	v_fma_f64 v[93:94], v[12:13], s[26:27], v[93:94]
	v_fma_f64 v[141:142], v[12:13], s[20:21], -v[103:104]
	v_fma_f64 v[103:104], v[12:13], s[20:21], v[103:104]
	v_add_f64 v[16:17], v[18:19], v[59:60]
	v_add_f64 v[18:19], v[161:162], v[81:82]
	;; [unrolled: 1-line block ×4, first 2 shown]
	v_fma_f64 v[83:84], v[10:11], s[18:19], v[85:86]
	v_fma_f64 v[143:144], v[10:11], s[20:21], v[111:112]
	v_add_f64 v[59:60], v[119:120], v[63:64]
	v_add_f64 v[63:64], v[127:128], v[117:118]
	v_fma_f64 v[81:82], v[12:13], s[22:23], -v[129:130]
	v_fma_f64 v[113:114], v[12:13], s[22:23], v[129:130]
	v_fma_f64 v[85:86], v[10:11], s[18:19], -v[85:86]
	v_fma_f64 v[111:112], v[10:11], s[20:21], -v[111:112]
	v_add_f64 v[20:21], v[49:50], v[89:90]
	v_add_f64 v[22:23], v[121:122], v[55:56]
	;; [unrolled: 1-line block ×5, first 2 shown]
	v_fma_f64 v[115:116], v[10:11], s[22:23], -v[135:136]
	v_fma_f64 v[119:120], v[12:13], s[12:13], -v[32:33]
	v_fma_f64 v[12:13], v[12:13], s[12:13], v[32:33]
	v_add_f64 v[105:106], v[133:134], v[61:62]
	v_fma_f64 v[61:62], v[10:11], s[22:23], v[135:136]
	v_fma_f64 v[121:122], v[10:11], s[12:13], v[34:35]
	v_fma_f64 v[123:124], v[10:11], s[12:13], -v[34:35]
	v_add_f64 v[10:11], v[137:138], v[42:43]
	v_add_co_u32 v42, s0, s17, v156
	s_delay_alu instid0(VALU_DEP_1)
	v_add_co_ci_u32_e64 v43, null, 0, 0, s0
	v_add_f64 v[24:25], v[125:126], v[71:72]
	v_add_f64 v[71:72], v[28:29], v[26:27]
	;; [unrolled: 1-line block ×5, first 2 shown]
	v_mul_lo_u32 v43, v43, s4
	v_mul_lo_u32 v75, v42, s5
	v_mad_u64_u32 v[73:74], null, v42, s4, 0
	v_mul_u32_u24_e32 v42, 17, v155
	v_add_f64 v[8:9], v[8:9], v[53:54]
	s_mul_i32 s0, s2, s16
	s_mul_i32 s2, s14, s7
	v_add_f64 v[34:35], v[69:70], v[109:110]
	s_lshl_b64 s[2:3], s[2:3], 4
	s_delay_alu instid0(VALU_DEP_4)
	v_add3_u32 v74, v74, v75, v43
	v_mul_lo_u32 v43, v42, s6
	s_add_u32 s2, s10, s2
	s_addc_u32 s3, s11, s3
	s_lshl_b64 s[0:1], s[0:1], 4
	v_add_f64 v[57:58], v[81:82], v[57:58]
	s_add_u32 s0, s2, s0
	s_addc_u32 s1, s3, s1
	v_add_f64 v[30:31], v[139:140], v[91:92]
	v_add_f64 v[32:33], v[83:84], v[107:108]
	;; [unrolled: 1-line block ×6, first 2 shown]
	v_lshlrev_b64 v[12:13], 4, v[73:74]
	v_lshlrev_b64 v[73:74], 4, v[43:44]
	v_add_nc_u32_e32 v43, s6, v43
	v_add_f64 v[51:52], v[143:144], v[77:78]
	v_add_f64 v[59:60], v[61:62], v[59:60]
	;; [unrolled: 1-line block ×3, first 2 shown]
	v_add_co_u32 v42, vcc_lo, s0, v12
	v_add_co_ci_u32_e32 v81, vcc_lo, s1, v13, vcc_lo
	v_lshlrev_b64 v[12:13], 4, v[43:44]
	v_add_nc_u32_e32 v43, s6, v43
	s_delay_alu instid0(VALU_DEP_4) | instskip(NEXT) | instid1(VALU_DEP_4)
	v_add_co_u32 v73, vcc_lo, v42, v73
	v_add_co_ci_u32_e32 v74, vcc_lo, v81, v74, vcc_lo
	s_delay_alu instid0(VALU_DEP_3) | instskip(SKIP_3) | instid1(VALU_DEP_3)
	v_lshlrev_b64 v[75:76], 4, v[43:44]
	v_add_nc_u32_e32 v43, s6, v43
	v_add_co_u32 v12, vcc_lo, v42, v12
	v_add_co_ci_u32_e32 v13, vcc_lo, v81, v13, vcc_lo
	v_lshlrev_b64 v[77:78], 4, v[43:44]
	v_add_nc_u32_e32 v43, s6, v43
	v_add_co_u32 v75, vcc_lo, v42, v75
	v_add_co_ci_u32_e32 v76, vcc_lo, v81, v76, vcc_lo
	s_delay_alu instid0(VALU_DEP_3)
	v_lshlrev_b64 v[79:80], 4, v[43:44]
	v_add_nc_u32_e32 v43, s6, v43
	v_add_co_u32 v77, vcc_lo, v42, v77
	v_add_co_ci_u32_e32 v78, vcc_lo, v81, v78, vcc_lo
	s_clause 0x3
	global_store_b128 v[73:74], v[0:3], off
	global_store_b128 v[12:13], v[4:7], off
	;; [unrolled: 1-line block ×4, first 2 shown]
	v_lshlrev_b64 v[0:1], 4, v[43:44]
	v_add_nc_u32_e32 v43, s6, v43
	v_add_f64 v[45:46], v[93:94], v[67:68]
	v_add_f64 v[61:62], v[113:114], v[63:64]
	;; [unrolled: 1-line block ×7, first 2 shown]
	v_lshlrev_b64 v[4:5], 4, v[43:44]
	v_add_nc_u32_e32 v43, s6, v43
	v_add_co_u32 v2, vcc_lo, v42, v79
	v_add_co_ci_u32_e32 v3, vcc_lo, v81, v80, vcc_lo
	v_add_co_u32 v0, vcc_lo, v42, v0
	s_delay_alu instid0(VALU_DEP_4) | instskip(SKIP_4) | instid1(VALU_DEP_4)
	v_lshlrev_b64 v[6:7], 4, v[43:44]
	v_add_nc_u32_e32 v43, s6, v43
	v_add_co_ci_u32_e32 v1, vcc_lo, v81, v1, vcc_lo
	v_add_co_u32 v4, vcc_lo, v42, v4
	v_add_co_ci_u32_e32 v5, vcc_lo, v81, v5, vcc_lo
	v_lshlrev_b64 v[8:9], 4, v[43:44]
	v_add_nc_u32_e32 v43, s6, v43
	v_add_co_u32 v6, vcc_lo, v42, v6
	v_add_co_ci_u32_e32 v7, vcc_lo, v81, v7, vcc_lo
	s_clause 0x3
	global_store_b128 v[2:3], v[30:33], off
	global_store_b128 v[0:1], v[38:41], off
	;; [unrolled: 1-line block ×4, first 2 shown]
	v_lshlrev_b64 v[0:1], 4, v[43:44]
	v_add_nc_u32_e32 v43, s6, v43
	v_add_f64 v[36:37], v[85:86], v[36:37]
	v_add_co_u32 v2, vcc_lo, v42, v8
	v_add_co_ci_u32_e32 v3, vcc_lo, v81, v9, vcc_lo
	s_delay_alu instid0(VALU_DEP_4) | instskip(SKIP_3) | instid1(VALU_DEP_3)
	v_lshlrev_b64 v[4:5], 4, v[43:44]
	v_add_nc_u32_e32 v43, s6, v43
	v_add_co_u32 v0, vcc_lo, v42, v0
	v_add_co_ci_u32_e32 v1, vcc_lo, v81, v1, vcc_lo
	v_lshlrev_b64 v[6:7], 4, v[43:44]
	v_add_nc_u32_e32 v43, s6, v43
	v_add_co_u32 v4, vcc_lo, v42, v4
	v_add_co_ci_u32_e32 v5, vcc_lo, v81, v5, vcc_lo
	s_delay_alu instid0(VALU_DEP_3)
	v_lshlrev_b64 v[8:9], 4, v[43:44]
	v_add_nc_u32_e32 v43, s6, v43
	v_add_co_u32 v6, vcc_lo, v42, v6
	v_add_co_ci_u32_e32 v7, vcc_lo, v81, v7, vcc_lo
	s_clause 0x3
	global_store_b128 v[2:3], v[65:68], off
	global_store_b128 v[0:1], v[69:72], off
	;; [unrolled: 1-line block ×4, first 2 shown]
	v_lshlrev_b64 v[0:1], 4, v[43:44]
	v_add_nc_u32_e32 v43, s6, v43
	v_add_co_u32 v2, vcc_lo, v42, v8
	v_add_co_ci_u32_e32 v3, vcc_lo, v81, v9, vcc_lo
	s_delay_alu instid0(VALU_DEP_3) | instskip(SKIP_3) | instid1(VALU_DEP_3)
	v_lshlrev_b64 v[4:5], 4, v[43:44]
	v_add_nc_u32_e32 v43, s6, v43
	v_add_co_u32 v0, vcc_lo, v42, v0
	v_add_co_ci_u32_e32 v1, vcc_lo, v81, v1, vcc_lo
	v_lshlrev_b64 v[6:7], 4, v[43:44]
	v_add_nc_u32_e32 v43, s6, v43
	v_add_co_u32 v4, vcc_lo, v42, v4
	v_add_co_ci_u32_e32 v5, vcc_lo, v81, v5, vcc_lo
	s_delay_alu instid0(VALU_DEP_3) | instskip(SKIP_2) | instid1(VALU_DEP_3)
	v_lshlrev_b64 v[8:9], 4, v[43:44]
	v_add_co_u32 v6, vcc_lo, v42, v6
	v_add_co_ci_u32_e32 v7, vcc_lo, v81, v7, vcc_lo
	v_add_co_u32 v8, vcc_lo, v42, v8
	s_delay_alu instid0(VALU_DEP_4)
	v_add_co_ci_u32_e32 v9, vcc_lo, v81, v9, vcc_lo
	s_clause 0x4
	global_store_b128 v[2:3], v[45:48], off
	global_store_b128 v[0:1], v[34:37], off
	;; [unrolled: 1-line block ×5, first 2 shown]
	s_nop 0
	s_sendmsg sendmsg(MSG_DEALLOC_VGPRS)
	s_endpgm
	.section	.rodata,"a",@progbits
	.p2align	6, 0x0
	.amdhsa_kernel fft_rtc_fwd_len17_factors_17_wgs_120_tpt_1_dp_op_CI_CI_sbrc_xy_z_aligned_dirReg
		.amdhsa_group_segment_fixed_size 0
		.amdhsa_private_segment_fixed_size 0
		.amdhsa_kernarg_size 104
		.amdhsa_user_sgpr_count 15
		.amdhsa_user_sgpr_dispatch_ptr 0
		.amdhsa_user_sgpr_queue_ptr 0
		.amdhsa_user_sgpr_kernarg_segment_ptr 1
		.amdhsa_user_sgpr_dispatch_id 0
		.amdhsa_user_sgpr_private_segment_size 0
		.amdhsa_wavefront_size32 1
		.amdhsa_uses_dynamic_stack 0
		.amdhsa_enable_private_segment 0
		.amdhsa_system_sgpr_workgroup_id_x 1
		.amdhsa_system_sgpr_workgroup_id_y 0
		.amdhsa_system_sgpr_workgroup_id_z 0
		.amdhsa_system_sgpr_workgroup_info 0
		.amdhsa_system_vgpr_workitem_id 0
		.amdhsa_next_free_vgpr 227
		.amdhsa_next_free_sgpr 60
		.amdhsa_reserve_vcc 1
		.amdhsa_float_round_mode_32 0
		.amdhsa_float_round_mode_16_64 0
		.amdhsa_float_denorm_mode_32 3
		.amdhsa_float_denorm_mode_16_64 3
		.amdhsa_dx10_clamp 1
		.amdhsa_ieee_mode 1
		.amdhsa_fp16_overflow 0
		.amdhsa_workgroup_processor_mode 1
		.amdhsa_memory_ordered 1
		.amdhsa_forward_progress 0
		.amdhsa_shared_vgpr_count 0
		.amdhsa_exception_fp_ieee_invalid_op 0
		.amdhsa_exception_fp_denorm_src 0
		.amdhsa_exception_fp_ieee_div_zero 0
		.amdhsa_exception_fp_ieee_overflow 0
		.amdhsa_exception_fp_ieee_underflow 0
		.amdhsa_exception_fp_ieee_inexact 0
		.amdhsa_exception_int_div_zero 0
	.end_amdhsa_kernel
	.text
.Lfunc_end0:
	.size	fft_rtc_fwd_len17_factors_17_wgs_120_tpt_1_dp_op_CI_CI_sbrc_xy_z_aligned_dirReg, .Lfunc_end0-fft_rtc_fwd_len17_factors_17_wgs_120_tpt_1_dp_op_CI_CI_sbrc_xy_z_aligned_dirReg
                                        ; -- End function
	.section	.AMDGPU.csdata,"",@progbits
; Kernel info:
; codeLenInByte = 10672
; NumSgprs: 62
; NumVgprs: 227
; ScratchSize: 0
; MemoryBound: 0
; FloatMode: 240
; IeeeMode: 1
; LDSByteSize: 0 bytes/workgroup (compile time only)
; SGPRBlocks: 7
; VGPRBlocks: 28
; NumSGPRsForWavesPerEU: 62
; NumVGPRsForWavesPerEU: 227
; Occupancy: 6
; WaveLimiterHint : 1
; COMPUTE_PGM_RSRC2:SCRATCH_EN: 0
; COMPUTE_PGM_RSRC2:USER_SGPR: 15
; COMPUTE_PGM_RSRC2:TRAP_HANDLER: 0
; COMPUTE_PGM_RSRC2:TGID_X_EN: 1
; COMPUTE_PGM_RSRC2:TGID_Y_EN: 0
; COMPUTE_PGM_RSRC2:TGID_Z_EN: 0
; COMPUTE_PGM_RSRC2:TIDIG_COMP_CNT: 0
	.text
	.p2alignl 7, 3214868480
	.fill 96, 4, 3214868480
	.type	__hip_cuid_9f0a64b2023f6340,@object ; @__hip_cuid_9f0a64b2023f6340
	.section	.bss,"aw",@nobits
	.globl	__hip_cuid_9f0a64b2023f6340
__hip_cuid_9f0a64b2023f6340:
	.byte	0                               ; 0x0
	.size	__hip_cuid_9f0a64b2023f6340, 1

	.ident	"AMD clang version 19.0.0git (https://github.com/RadeonOpenCompute/llvm-project roc-6.4.0 25133 c7fe45cf4b819c5991fe208aaa96edf142730f1d)"
	.section	".note.GNU-stack","",@progbits
	.addrsig
	.addrsig_sym __hip_cuid_9f0a64b2023f6340
	.amdgpu_metadata
---
amdhsa.kernels:
  - .args:
      - .actual_access:  read_only
        .address_space:  global
        .offset:         0
        .size:           8
        .value_kind:     global_buffer
      - .offset:         8
        .size:           8
        .value_kind:     by_value
      - .actual_access:  read_only
        .address_space:  global
        .offset:         16
        .size:           8
        .value_kind:     global_buffer
      - .actual_access:  read_only
        .address_space:  global
        .offset:         24
        .size:           8
        .value_kind:     global_buffer
      - .actual_access:  read_only
        .address_space:  global
        .offset:         32
        .size:           8
        .value_kind:     global_buffer
      - .offset:         40
        .size:           8
        .value_kind:     by_value
      - .actual_access:  read_only
        .address_space:  global
        .offset:         48
        .size:           8
        .value_kind:     global_buffer
      - .actual_access:  read_only
        .address_space:  global
        .offset:         56
        .size:           8
        .value_kind:     global_buffer
      - .offset:         64
        .size:           4
        .value_kind:     by_value
      - .actual_access:  read_only
        .address_space:  global
        .offset:         72
        .size:           8
        .value_kind:     global_buffer
      - .actual_access:  read_only
        .address_space:  global
        .offset:         80
        .size:           8
        .value_kind:     global_buffer
      - .actual_access:  read_only
        .address_space:  global
        .offset:         88
        .size:           8
        .value_kind:     global_buffer
      - .actual_access:  write_only
        .address_space:  global
        .offset:         96
        .size:           8
        .value_kind:     global_buffer
    .group_segment_fixed_size: 0
    .kernarg_segment_align: 8
    .kernarg_segment_size: 104
    .language:       OpenCL C
    .language_version:
      - 2
      - 0
    .max_flat_workgroup_size: 120
    .name:           fft_rtc_fwd_len17_factors_17_wgs_120_tpt_1_dp_op_CI_CI_sbrc_xy_z_aligned_dirReg
    .private_segment_fixed_size: 0
    .sgpr_count:     62
    .sgpr_spill_count: 0
    .symbol:         fft_rtc_fwd_len17_factors_17_wgs_120_tpt_1_dp_op_CI_CI_sbrc_xy_z_aligned_dirReg.kd
    .uniform_work_group_size: 1
    .uses_dynamic_stack: false
    .vgpr_count:     227
    .vgpr_spill_count: 0
    .wavefront_size: 32
    .workgroup_processor_mode: 1
amdhsa.target:   amdgcn-amd-amdhsa--gfx1100
amdhsa.version:
  - 1
  - 2
...

	.end_amdgpu_metadata
